;; amdgpu-corpus repo=ROCm/rocFFT kind=compiled arch=gfx1201 opt=O3
	.text
	.amdgcn_target "amdgcn-amd-amdhsa--gfx1201"
	.amdhsa_code_object_version 6
	.protected	fft_rtc_back_len80_factors_10_8_wgs_160_tpt_10_dp_op_CI_CI_sbcc_dirReg_intrinsicReadWrite ; -- Begin function fft_rtc_back_len80_factors_10_8_wgs_160_tpt_10_dp_op_CI_CI_sbcc_dirReg_intrinsicReadWrite
	.globl	fft_rtc_back_len80_factors_10_8_wgs_160_tpt_10_dp_op_CI_CI_sbcc_dirReg_intrinsicReadWrite
	.p2align	8
	.type	fft_rtc_back_len80_factors_10_8_wgs_160_tpt_10_dp_op_CI_CI_sbcc_dirReg_intrinsicReadWrite,@function
fft_rtc_back_len80_factors_10_8_wgs_160_tpt_10_dp_op_CI_CI_sbcc_dirReg_intrinsicReadWrite: ; @fft_rtc_back_len80_factors_10_8_wgs_160_tpt_10_dp_op_CI_CI_sbcc_dirReg_intrinsicReadWrite
; %bb.0:
	s_clause 0x1
	s_load_b128 s[16:19], s[0:1], 0x18
	s_load_b64 s[2:3], s[0:1], 0x28
	s_mov_b32 s34, ttmp9
	s_mov_b32 s35, 0
	s_mov_b64 s[22:23], 0
	s_wait_kmcnt 0x0
	s_load_b64 s[26:27], s[16:17], 0x8
	s_wait_kmcnt 0x0
	s_add_nc_u64 s[4:5], s[26:27], -1
	s_delay_alu instid0(SALU_CYCLE_1) | instskip(NEXT) | instid1(SALU_CYCLE_1)
	s_lshr_b64 s[4:5], s[4:5], 4
	s_add_nc_u64 s[30:31], s[4:5], 1
	s_delay_alu instid0(SALU_CYCLE_1) | instskip(NEXT) | instid1(VALU_DEP_1)
	v_cmp_lt_u64_e64 s4, s[34:35], s[30:31]
	s_and_b32 vcc_lo, exec_lo, s4
	s_cbranch_vccnz .LBB0_2
; %bb.1:
	v_cvt_f32_u32_e32 v1, s30
	s_sub_co_i32 s5, 0, s30
	s_mov_b32 s23, s35
	s_delay_alu instid0(VALU_DEP_1) | instskip(NEXT) | instid1(TRANS32_DEP_1)
	v_rcp_iflag_f32_e32 v1, v1
	v_mul_f32_e32 v1, 0x4f7ffffe, v1
	s_delay_alu instid0(VALU_DEP_1) | instskip(NEXT) | instid1(VALU_DEP_1)
	v_cvt_u32_f32_e32 v1, v1
	v_readfirstlane_b32 s4, v1
	s_delay_alu instid0(VALU_DEP_1) | instskip(NEXT) | instid1(SALU_CYCLE_1)
	s_mul_i32 s5, s5, s4
	s_mul_hi_u32 s5, s4, s5
	s_delay_alu instid0(SALU_CYCLE_1) | instskip(NEXT) | instid1(SALU_CYCLE_1)
	s_add_co_i32 s4, s4, s5
	s_mul_hi_u32 s4, s34, s4
	s_delay_alu instid0(SALU_CYCLE_1) | instskip(SKIP_2) | instid1(SALU_CYCLE_1)
	s_mul_i32 s5, s4, s30
	s_add_co_i32 s6, s4, 1
	s_sub_co_i32 s5, s34, s5
	s_sub_co_i32 s7, s5, s30
	s_cmp_ge_u32 s5, s30
	s_cselect_b32 s4, s6, s4
	s_cselect_b32 s5, s7, s5
	s_add_co_i32 s6, s4, 1
	s_cmp_ge_u32 s5, s30
	s_cselect_b32 s22, s6, s4
.LBB0_2:
	s_load_b64 s[36:37], s[0:1], 0x10
	s_load_b128 s[12:15], s[18:19], 0x0
	s_load_b128 s[8:11], s[2:3], 0x0
	s_clause 0x1
	s_load_b64 s[24:25], s[0:1], 0x0
	s_load_b128 s[4:7], s[0:1], 0x60
	s_mul_u64 s[0:1], s[22:23], s[30:31]
	s_delay_alu instid0(SALU_CYCLE_1) | instskip(NEXT) | instid1(SALU_CYCLE_1)
	s_sub_nc_u64 s[0:1], s[34:35], s[0:1]
	s_lshl_b64 s[0:1], s[0:1], 4
	s_wait_kmcnt 0x0
	v_cmp_lt_u64_e64 s9, s[36:37], 3
	s_mul_u64 s[28:29], s[14:15], s[0:1]
	s_mul_u64 s[20:21], s[10:11], s[0:1]
	s_delay_alu instid0(VALU_DEP_1)
	s_and_b32 vcc_lo, exec_lo, s9
	s_cbranch_vccnz .LBB0_12
; %bb.3:
	s_add_nc_u64 s[38:39], s[2:3], 16
	s_add_nc_u64 s[40:41], s[18:19], 16
	;; [unrolled: 1-line block ×3, first 2 shown]
	s_mov_b64 s[42:43], 2
	s_mov_b32 s44, 0
.LBB0_4:                                ; =>This Inner Loop Header: Depth=1
	s_load_b64 s[46:47], s[16:17], 0x0
                                        ; implicit-def: $sgpr50_sgpr51
	s_wait_kmcnt 0x0
	s_or_b64 s[48:49], s[22:23], s[46:47]
	s_delay_alu instid0(SALU_CYCLE_1)
	s_mov_b32 s45, s49
	s_mov_b32 s49, -1
	s_cmp_lg_u64 s[44:45], 0
	s_cbranch_scc0 .LBB0_6
; %bb.5:                                ;   in Loop: Header=BB0_4 Depth=1
	s_cvt_f32_u32 s9, s46
	s_cvt_f32_u32 s11, s47
	s_sub_nc_u64 s[52:53], 0, s[46:47]
	s_mov_b32 s49, 0
	s_mov_b32 s57, s44
	s_wait_alu 0xfffe
	s_fmamk_f32 s9, s11, 0x4f800000, s9
	s_wait_alu 0xfffe
	s_delay_alu instid0(SALU_CYCLE_2) | instskip(NEXT) | instid1(TRANS32_DEP_1)
	v_s_rcp_f32 s9, s9
	s_mul_f32 s9, s9, 0x5f7ffffc
	s_wait_alu 0xfffe
	s_delay_alu instid0(SALU_CYCLE_2) | instskip(NEXT) | instid1(SALU_CYCLE_3)
	s_mul_f32 s11, s9, 0x2f800000
	s_trunc_f32 s11, s11
	s_delay_alu instid0(SALU_CYCLE_3) | instskip(SKIP_2) | instid1(SALU_CYCLE_1)
	s_fmamk_f32 s9, s11, 0xcf800000, s9
	s_cvt_u32_f32 s51, s11
	s_wait_alu 0xfffe
	s_cvt_u32_f32 s50, s9
	s_wait_alu 0xfffe
	s_delay_alu instid0(SALU_CYCLE_2)
	s_mul_u64 s[54:55], s[52:53], s[50:51]
	s_wait_alu 0xfffe
	s_mul_hi_u32 s59, s50, s55
	s_mul_i32 s58, s50, s55
	s_mul_hi_u32 s48, s50, s54
	s_mul_i32 s11, s51, s54
	s_add_nc_u64 s[58:59], s[48:49], s[58:59]
	s_mul_hi_u32 s9, s51, s54
	s_mul_hi_u32 s13, s51, s55
	s_add_co_u32 s11, s58, s11
	s_wait_alu 0xfffe
	s_add_co_ci_u32 s56, s59, s9
	s_mul_i32 s54, s51, s55
	s_add_co_ci_u32 s55, s13, 0
	s_wait_alu 0xfffe
	s_add_nc_u64 s[54:55], s[56:57], s[54:55]
	s_wait_alu 0xfffe
	v_add_co_u32 v1, s9, s50, s54
	s_delay_alu instid0(VALU_DEP_1) | instskip(SKIP_1) | instid1(VALU_DEP_1)
	s_cmp_lg_u32 s9, 0
	s_add_co_ci_u32 s51, s51, s55
	v_readfirstlane_b32 s50, v1
	s_mov_b32 s55, s44
	s_wait_alu 0xfffe
	s_delay_alu instid0(VALU_DEP_1)
	s_mul_u64 s[52:53], s[52:53], s[50:51]
	s_wait_alu 0xfffe
	s_mul_hi_u32 s57, s50, s53
	s_mul_i32 s56, s50, s53
	s_mul_hi_u32 s48, s50, s52
	s_mul_i32 s11, s51, s52
	s_add_nc_u64 s[56:57], s[48:49], s[56:57]
	s_mul_hi_u32 s9, s51, s52
	s_mul_hi_u32 s13, s51, s53
	s_add_co_u32 s11, s56, s11
	s_wait_alu 0xfffe
	s_add_co_ci_u32 s54, s57, s9
	s_mul_i32 s52, s51, s53
	s_add_co_ci_u32 s53, s13, 0
	s_wait_alu 0xfffe
	s_add_nc_u64 s[52:53], s[54:55], s[52:53]
	s_wait_alu 0xfffe
	v_add_co_u32 v1, s9, v1, s52
	s_delay_alu instid0(VALU_DEP_1) | instskip(SKIP_1) | instid1(VALU_DEP_1)
	s_cmp_lg_u32 s9, 0
	s_add_co_ci_u32 s9, s51, s53
	v_readfirstlane_b32 s11, v1
	s_wait_alu 0xfffe
	s_mul_hi_u32 s51, s22, s9
	s_mul_i32 s50, s22, s9
	s_mul_hi_u32 s13, s23, s9
	s_mul_i32 s52, s23, s9
	;; [unrolled: 2-line block ×3, first 2 shown]
	s_wait_alu 0xfffe
	s_add_nc_u64 s[50:51], s[48:49], s[50:51]
	s_mul_hi_u32 s11, s23, s11
	s_wait_alu 0xfffe
	s_add_co_u32 s9, s50, s9
	s_add_co_ci_u32 s54, s51, s11
	s_add_co_ci_u32 s53, s13, 0
	s_wait_alu 0xfffe
	s_add_nc_u64 s[50:51], s[54:55], s[52:53]
	s_wait_alu 0xfffe
	s_mul_u64 s[52:53], s[46:47], s[50:51]
	s_add_nc_u64 s[54:55], s[50:51], 1
	s_wait_alu 0xfffe
	v_sub_co_u32 v1, s9, s22, s52
	s_sub_co_i32 s11, s23, s53
	s_cmp_lg_u32 s9, 0
	s_add_nc_u64 s[56:57], s[50:51], 2
	s_delay_alu instid0(VALU_DEP_1) | instskip(SKIP_2) | instid1(VALU_DEP_1)
	v_sub_co_u32 v2, s13, v1, s46
	s_sub_co_ci_u32 s11, s11, s47
	s_cmp_lg_u32 s13, 0
	v_readfirstlane_b32 s13, v2
	s_sub_co_ci_u32 s11, s11, 0
	s_delay_alu instid0(SALU_CYCLE_1) | instskip(SKIP_1) | instid1(VALU_DEP_1)
	s_cmp_ge_u32 s11, s47
	s_cselect_b32 s33, -1, 0
	s_cmp_ge_u32 s13, s46
	s_cselect_b32 s13, -1, 0
	s_cmp_eq_u32 s11, s47
	s_cselect_b32 s11, s13, s33
	s_delay_alu instid0(SALU_CYCLE_1)
	s_cmp_lg_u32 s11, 0
	s_cselect_b32 s11, s56, s54
	s_cselect_b32 s13, s57, s55
	s_cmp_lg_u32 s9, 0
	v_readfirstlane_b32 s9, v1
	s_sub_co_ci_u32 s33, s23, s53
	s_delay_alu instid0(SALU_CYCLE_1) | instskip(SKIP_1) | instid1(VALU_DEP_1)
	s_cmp_ge_u32 s33, s47
	s_cselect_b32 s45, -1, 0
	s_cmp_ge_u32 s9, s46
	s_cselect_b32 s9, -1, 0
	s_cmp_eq_u32 s33, s47
	s_wait_alu 0xfffe
	s_cselect_b32 s9, s9, s45
	s_wait_alu 0xfffe
	s_cmp_lg_u32 s9, 0
	s_cselect_b32 s51, s13, s51
	s_cselect_b32 s50, s11, s50
.LBB0_6:                                ;   in Loop: Header=BB0_4 Depth=1
	s_and_not1_b32 vcc_lo, exec_lo, s49
	s_cbranch_vccnz .LBB0_8
; %bb.7:                                ;   in Loop: Header=BB0_4 Depth=1
	v_cvt_f32_u32_e32 v1, s46
	s_sub_co_i32 s11, 0, s46
	s_mov_b32 s51, s44
	s_delay_alu instid0(VALU_DEP_1) | instskip(NEXT) | instid1(TRANS32_DEP_1)
	v_rcp_iflag_f32_e32 v1, v1
	v_mul_f32_e32 v1, 0x4f7ffffe, v1
	s_delay_alu instid0(VALU_DEP_1) | instskip(NEXT) | instid1(VALU_DEP_1)
	v_cvt_u32_f32_e32 v1, v1
	v_readfirstlane_b32 s9, v1
	s_delay_alu instid0(VALU_DEP_1) | instskip(NEXT) | instid1(SALU_CYCLE_1)
	s_mul_i32 s11, s11, s9
	s_mul_hi_u32 s11, s9, s11
	s_delay_alu instid0(SALU_CYCLE_1)
	s_add_co_i32 s9, s9, s11
	s_wait_alu 0xfffe
	s_mul_hi_u32 s9, s22, s9
	s_wait_alu 0xfffe
	s_mul_i32 s11, s9, s46
	s_add_co_i32 s13, s9, 1
	s_sub_co_i32 s11, s22, s11
	s_delay_alu instid0(SALU_CYCLE_1)
	s_sub_co_i32 s33, s11, s46
	s_cmp_ge_u32 s11, s46
	s_cselect_b32 s9, s13, s9
	s_cselect_b32 s11, s33, s11
	s_wait_alu 0xfffe
	s_add_co_i32 s13, s9, 1
	s_cmp_ge_u32 s11, s46
	s_cselect_b32 s50, s13, s9
.LBB0_8:                                ;   in Loop: Header=BB0_4 Depth=1
	s_load_b64 s[48:49], s[40:41], 0x0
	s_load_b64 s[52:53], s[38:39], 0x0
	s_add_nc_u64 s[42:43], s[42:43], 1
	s_mul_u64 s[30:31], s[46:47], s[30:31]
	s_wait_alu 0xfffe
	v_cmp_ge_u64_e64 s9, s[42:43], s[36:37]
	s_mul_u64 s[46:47], s[50:51], s[46:47]
	s_add_nc_u64 s[38:39], s[38:39], 8
	s_wait_alu 0xfffe
	s_sub_nc_u64 s[22:23], s[22:23], s[46:47]
	s_add_nc_u64 s[40:41], s[40:41], 8
	s_add_nc_u64 s[16:17], s[16:17], 8
	s_and_b32 vcc_lo, exec_lo, s9
	s_wait_kmcnt 0x0
	s_wait_alu 0xfffe
	s_mul_u64 s[46:47], s[48:49], s[22:23]
	s_mul_u64 s[22:23], s[52:53], s[22:23]
	s_wait_alu 0xfffe
	s_add_nc_u64 s[28:29], s[46:47], s[28:29]
	s_add_nc_u64 s[20:21], s[22:23], s[20:21]
	s_cbranch_vccnz .LBB0_10
; %bb.9:                                ;   in Loop: Header=BB0_4 Depth=1
	s_mov_b64 s[22:23], s[50:51]
	s_branch .LBB0_4
.LBB0_10:
	v_cmp_lt_u64_e64 s9, s[34:35], s[30:31]
	s_mov_b64 s[22:23], 0
	s_delay_alu instid0(VALU_DEP_1)
	s_and_b32 vcc_lo, exec_lo, s9
	s_cbranch_vccnz .LBB0_12
; %bb.11:
	v_cvt_f32_u32_e32 v1, s30
	s_sub_co_i32 s11, 0, s30
	s_mov_b32 s23, 0
	s_delay_alu instid0(VALU_DEP_1) | instskip(NEXT) | instid1(TRANS32_DEP_1)
	v_rcp_iflag_f32_e32 v1, v1
	v_mul_f32_e32 v1, 0x4f7ffffe, v1
	s_delay_alu instid0(VALU_DEP_1) | instskip(NEXT) | instid1(VALU_DEP_1)
	v_cvt_u32_f32_e32 v1, v1
	v_readfirstlane_b32 s9, v1
	s_delay_alu instid0(VALU_DEP_1) | instskip(NEXT) | instid1(SALU_CYCLE_1)
	s_mul_i32 s11, s11, s9
	s_mul_hi_u32 s11, s9, s11
	s_delay_alu instid0(SALU_CYCLE_1)
	s_add_co_i32 s9, s9, s11
	s_wait_alu 0xfffe
	s_mul_hi_u32 s9, s34, s9
	s_wait_alu 0xfffe
	s_mul_i32 s11, s9, s30
	s_add_co_i32 s13, s9, 1
	s_sub_co_i32 s11, s34, s11
	s_delay_alu instid0(SALU_CYCLE_1)
	s_sub_co_i32 s16, s11, s30
	s_cmp_ge_u32 s11, s30
	s_cselect_b32 s9, s13, s9
	s_cselect_b32 s11, s16, s11
	s_wait_alu 0xfffe
	s_add_co_i32 s13, s9, 1
	s_cmp_ge_u32 s11, s30
	s_cselect_b32 s22, s13, s9
.LBB0_12:
	v_dual_mov_b32 v2, s1 :: v_dual_and_b32 v43, 15, v0
	v_cmp_gt_u32_e32 vcc_lo, 0x80, v0
	s_lshl_b64 s[16:17], s[36:37], 3
	s_add_nc_u64 s[30:31], s[0:1], 16
	s_delay_alu instid0(VALU_DEP_2)
	v_or_b32_e32 v1, s0, v43
	s_add_nc_u64 s[18:19], s[18:19], s[16:17]
	v_cndmask_b32_e64 v3, 0, 1, vcc_lo
	s_load_b64 s[18:19], s[18:19], 0x0
	v_cmp_le_u64_e64 s9, s[30:31], s[26:27]
	v_cmp_gt_u64_e32 vcc_lo, s[26:27], v[1:2]
	v_cmp_lt_u32_e64 s0, 0x7f, v0
	v_mad_co_u64_u32 v[41:42], null, s14, v43, 0
	s_delay_alu instid0(VALU_DEP_2) | instskip(SKIP_3) | instid1(VALU_DEP_1)
	s_or_b32 s0, s0, s9
	s_wait_alu 0xfffd
	v_cndmask_b32_e64 v1, 0, 1, vcc_lo
	s_wait_alu 0xfffe
	v_cndmask_b32_e64 v2, v1, v3, s0
	v_mov_b32_e32 v7, 0
	s_delay_alu instid0(VALU_DEP_4) | instskip(NEXT) | instid1(VALU_DEP_2)
	v_dual_mov_b32 v8, 0 :: v_dual_mov_b32 v1, v42
	v_dual_mov_b32 v3, v7 :: v_dual_and_b32 v6, 1, v2
	s_delay_alu instid0(VALU_DEP_2) | instskip(NEXT) | instid1(VALU_DEP_3)
	v_dual_mov_b32 v5, 0 :: v_dual_mov_b32 v4, v8
	v_mad_co_u64_u32 v[1:2], null, s15, v43, v[1:2]
	v_mov_b32_e32 v1, v7
	v_lshrrev_b32_e32 v42, 4, v0
	v_cmp_eq_u32_e64 s0, 1, v6
	v_mov_b32_e32 v2, v8
	s_wait_kmcnt 0x0
	s_mul_u64 s[14:15], s[18:19], s[22:23]
	s_wait_alu 0xfffe
	s_add_nc_u64 s[14:15], s[14:15], s[28:29]
	s_and_saveexec_b32 s11, s0
	s_cbranch_execz .LBB0_14
; %bb.13:
	v_mul_lo_u32 v1, s12, v42
	s_wait_alu 0xfffe
	s_delay_alu instid0(VALU_DEP_1) | instskip(NEXT) | instid1(VALU_DEP_1)
	v_add3_u32 v4, s14, v41, v1
	v_lshlrev_b64_e32 v[1:2], 4, v[4:5]
	s_delay_alu instid0(VALU_DEP_1) | instskip(SKIP_1) | instid1(VALU_DEP_2)
	v_add_co_u32 v1, s1, s4, v1
	s_wait_alu 0xf1ff
	v_add_co_ci_u32_e64 v2, s1, s5, v2, s1
	global_load_b128 v[1:4], v[1:2], off
.LBB0_14:
	s_or_b32 exec_lo, exec_lo, s11
	v_dual_mov_b32 v5, v7 :: v_dual_mov_b32 v6, v8
	s_and_saveexec_b32 s11, s0
	s_cbranch_execz .LBB0_16
; %bb.15:
	v_dual_mov_b32 v6, 0 :: v_dual_add_nc_u32 v5, 8, v42
	s_delay_alu instid0(VALU_DEP_1) | instskip(SKIP_1) | instid1(VALU_DEP_1)
	v_mul_lo_u32 v5, s12, v5
	s_wait_alu 0xfffe
	v_add3_u32 v5, s14, v41, v5
	s_delay_alu instid0(VALU_DEP_1) | instskip(NEXT) | instid1(VALU_DEP_1)
	v_lshlrev_b64_e32 v[5:6], 4, v[5:6]
	v_add_co_u32 v5, s1, s4, v5
	s_wait_alu 0xf1ff
	s_delay_alu instid0(VALU_DEP_2)
	v_add_co_ci_u32_e64 v6, s1, s5, v6, s1
	global_load_b128 v[5:8], v[5:6], off
.LBB0_16:
	s_or_b32 exec_lo, exec_lo, s11
	v_mov_b32_e32 v15, 0
	v_mov_b32_e32 v16, 0
	s_delay_alu instid0(VALU_DEP_2) | instskip(NEXT) | instid1(VALU_DEP_2)
	v_mov_b32_e32 v11, v15
	v_dual_mov_b32 v9, v15 :: v_dual_mov_b32 v10, v16
	v_mov_b32_e32 v12, v16
	s_and_saveexec_b32 s11, s0
	s_cbranch_execz .LBB0_18
; %bb.17:
	v_or_b32_e32 v9, 16, v42
	v_mov_b32_e32 v10, 0
	s_delay_alu instid0(VALU_DEP_2) | instskip(SKIP_1) | instid1(VALU_DEP_1)
	v_mul_lo_u32 v9, s12, v9
	s_wait_alu 0xfffe
	v_add3_u32 v9, s14, v41, v9
	s_delay_alu instid0(VALU_DEP_1) | instskip(NEXT) | instid1(VALU_DEP_1)
	v_lshlrev_b64_e32 v[9:10], 4, v[9:10]
	v_add_co_u32 v9, s1, s4, v9
	s_wait_alu 0xf1ff
	s_delay_alu instid0(VALU_DEP_2)
	v_add_co_ci_u32_e64 v10, s1, s5, v10, s1
	global_load_b128 v[9:12], v[9:10], off
.LBB0_18:
	s_or_b32 exec_lo, exec_lo, s11
	v_dual_mov_b32 v13, v15 :: v_dual_mov_b32 v14, v16
	s_and_saveexec_b32 s11, s0
	s_cbranch_execz .LBB0_20
; %bb.19:
	v_dual_mov_b32 v14, 0 :: v_dual_add_nc_u32 v13, 24, v42
	s_delay_alu instid0(VALU_DEP_1) | instskip(SKIP_1) | instid1(VALU_DEP_1)
	v_mul_lo_u32 v13, s12, v13
	s_wait_alu 0xfffe
	v_add3_u32 v13, s14, v41, v13
	s_delay_alu instid0(VALU_DEP_1) | instskip(NEXT) | instid1(VALU_DEP_1)
	v_lshlrev_b64_e32 v[13:14], 4, v[13:14]
	v_add_co_u32 v13, s1, s4, v13
	s_wait_alu 0xf1ff
	s_delay_alu instid0(VALU_DEP_2)
	v_add_co_ci_u32_e64 v14, s1, s5, v14, s1
	global_load_b128 v[13:16], v[13:14], off
.LBB0_20:
	s_or_b32 exec_lo, exec_lo, s11
	v_mov_b32_e32 v19, 0
	v_mov_b32_e32 v20, 0
	s_delay_alu instid0(VALU_DEP_1)
	v_dual_mov_b32 v24, v20 :: v_dual_mov_b32 v23, v19
	v_dual_mov_b32 v22, v20 :: v_dual_mov_b32 v21, v19
	s_and_saveexec_b32 s11, s0
	s_cbranch_execz .LBB0_22
; %bb.21:
	v_or_b32_e32 v17, 32, v42
	v_mov_b32_e32 v18, 0
	s_delay_alu instid0(VALU_DEP_2) | instskip(SKIP_1) | instid1(VALU_DEP_1)
	v_mul_lo_u32 v17, s12, v17
	s_wait_alu 0xfffe
	v_add3_u32 v17, s14, v41, v17
	s_delay_alu instid0(VALU_DEP_1) | instskip(NEXT) | instid1(VALU_DEP_1)
	v_lshlrev_b64_e32 v[17:18], 4, v[17:18]
	v_add_co_u32 v17, s1, s4, v17
	s_wait_alu 0xf1ff
	s_delay_alu instid0(VALU_DEP_2)
	v_add_co_ci_u32_e64 v18, s1, s5, v18, s1
	global_load_b128 v[21:24], v[17:18], off
.LBB0_22:
	s_or_b32 exec_lo, exec_lo, s11
	v_dual_mov_b32 v17, v19 :: v_dual_mov_b32 v18, v20
	s_and_saveexec_b32 s11, s0
	s_cbranch_execz .LBB0_24
; %bb.23:
	v_dual_mov_b32 v18, 0 :: v_dual_add_nc_u32 v17, 40, v42
	s_delay_alu instid0(VALU_DEP_1) | instskip(SKIP_1) | instid1(VALU_DEP_1)
	v_mul_lo_u32 v17, s12, v17
	s_wait_alu 0xfffe
	v_add3_u32 v17, s14, v41, v17
	s_delay_alu instid0(VALU_DEP_1) | instskip(NEXT) | instid1(VALU_DEP_1)
	v_lshlrev_b64_e32 v[17:18], 4, v[17:18]
	v_add_co_u32 v17, s1, s4, v17
	s_wait_alu 0xf1ff
	s_delay_alu instid0(VALU_DEP_2)
	v_add_co_ci_u32_e64 v18, s1, s5, v18, s1
	global_load_b128 v[17:20], v[17:18], off
.LBB0_24:
	s_or_b32 exec_lo, exec_lo, s11
	v_mov_b32_e32 v27, 0
	v_mov_b32_e32 v28, 0
	s_delay_alu instid0(VALU_DEP_1)
	v_dual_mov_b32 v32, v28 :: v_dual_mov_b32 v31, v27
	v_dual_mov_b32 v30, v28 :: v_dual_mov_b32 v29, v27
	;; [unrolled: 41-line block ×3, first 2 shown]
	s_and_saveexec_b32 s11, s0
	s_cbranch_execz .LBB0_30
; %bb.29:
	v_or_b32_e32 v33, 64, v42
	v_mov_b32_e32 v34, 0
	s_delay_alu instid0(VALU_DEP_2) | instskip(SKIP_1) | instid1(VALU_DEP_1)
	v_mul_lo_u32 v33, s12, v33
	s_wait_alu 0xfffe
	v_add3_u32 v33, s14, v41, v33
	s_delay_alu instid0(VALU_DEP_1) | instskip(NEXT) | instid1(VALU_DEP_1)
	v_lshlrev_b64_e32 v[33:34], 4, v[33:34]
	v_add_co_u32 v33, s1, s4, v33
	s_wait_alu 0xf1ff
	s_delay_alu instid0(VALU_DEP_2)
	v_add_co_ci_u32_e64 v34, s1, s5, v34, s1
	global_load_b128 v[37:40], v[33:34], off
.LBB0_30:
	s_or_b32 exec_lo, exec_lo, s11
	v_dual_mov_b32 v33, v35 :: v_dual_mov_b32 v34, v36
	s_and_saveexec_b32 s1, s0
	s_cbranch_execz .LBB0_32
; %bb.31:
	v_dual_mov_b32 v34, 0 :: v_dual_add_nc_u32 v33, 0x48, v42
	s_delay_alu instid0(VALU_DEP_1) | instskip(SKIP_1) | instid1(VALU_DEP_1)
	v_mul_lo_u32 v33, s12, v33
	s_wait_alu 0xfffe
	v_add3_u32 v33, s14, v41, v33
	s_delay_alu instid0(VALU_DEP_1) | instskip(NEXT) | instid1(VALU_DEP_1)
	v_lshlrev_b64_e32 v[33:34], 4, v[33:34]
	v_add_co_u32 v33, s0, s4, v33
	s_wait_alu 0xf1ff
	s_delay_alu instid0(VALU_DEP_2)
	v_add_co_ci_u32_e64 v34, s0, s5, v34, s0
	global_load_b128 v[33:36], v[33:34], off
.LBB0_32:
	s_wait_alu 0xfffe
	s_or_b32 exec_lo, exec_lo, s1
	v_lshlrev_b32_e32 v41, 4, v43
	s_mov_b32 s11, exec_lo
	v_cmpx_gt_u32_e32 0x80, v0
	s_cbranch_execz .LBB0_34
; %bb.33:
	s_wait_loadcnt 0x0
	v_add_f64_e32 v[44:45], v[19:20], v[27:28]
	v_add_f64_e32 v[46:47], v[15:16], v[35:36]
	;; [unrolled: 1-line block ×4, first 2 shown]
	v_add_f64_e64 v[52:53], v[19:20], -v[27:28]
	v_add_f64_e64 v[54:55], v[13:14], -v[33:34]
	;; [unrolled: 1-line block ×3, first 2 shown]
	s_mov_b32 s4, 0x134454ff
	s_mov_b32 s5, 0xbfee6f0e
	;; [unrolled: 1-line block ×3, first 2 shown]
	s_wait_alu 0xfffe
	s_mov_b32 s0, s4
	v_add_f64_e32 v[58:59], v[23:24], v[31:32]
	v_add_f64_e64 v[60:61], v[15:16], -v[35:36]
	v_add_f64_e64 v[62:63], v[15:16], -v[19:20]
	;; [unrolled: 1-line block ×3, first 2 shown]
	v_add_f64_e32 v[66:67], v[11:12], v[39:40]
	v_add_f64_e64 v[68:69], v[17:18], -v[13:14]
	v_add_f64_e64 v[70:71], v[25:26], -v[33:34]
	v_add_f64_e64 v[72:73], v[19:20], -v[15:16]
	v_add_f64_e32 v[74:75], v[21:22], v[29:30]
	v_add_f64_e64 v[76:77], v[27:28], -v[35:36]
	v_add_f64_e32 v[78:79], v[9:10], v[37:38]
	s_mov_b32 s12, 0x4755a5e
	s_mov_b32 s13, 0xbfe2cf23
	;; [unrolled: 1-line block ×3, first 2 shown]
	s_wait_alu 0xfffe
	s_mov_b32 s14, s12
	v_add_f64_e32 v[90:91], v[3:4], v[11:12]
	v_add_f64_e64 v[86:87], v[9:10], -v[37:38]
	v_add_f64_e64 v[88:89], v[21:22], -v[29:30]
	v_add_f64_e64 v[92:93], v[33:34], -v[25:26]
	s_mov_b32 s18, 0x372fe950
	s_mov_b32 s19, 0x3fd3c6ef
	;; [unrolled: 1-line block ×7, first 2 shown]
	s_wait_alu 0xfffe
	s_mov_b32 s30, s26
	v_fma_f64 v[44:45], v[44:45], -0.5, v[7:8]
	v_fma_f64 v[46:47], v[46:47], -0.5, v[7:8]
	;; [unrolled: 1-line block ×4, first 2 shown]
	v_add_f64_e32 v[7:8], v[7:8], v[15:16]
	v_add_f64_e32 v[5:6], v[5:6], v[13:14]
	;; [unrolled: 1-line block ×3, first 2 shown]
	v_add_f64_e64 v[13:14], v[13:14], -v[17:18]
	v_fma_f64 v[58:59], v[58:59], -0.5, v[3:4]
	v_add_f64_e32 v[62:63], v[62:63], v[64:65]
	v_add_f64_e64 v[64:65], v[11:12], -v[39:40]
	v_fma_f64 v[3:4], v[66:67], -0.5, v[3:4]
	v_add_f64_e32 v[66:67], v[68:69], v[70:71]
	;; [unrolled: 3-line block ×3, first 2 shown]
	v_fma_f64 v[1:2], v[78:79], -0.5, v[1:2]
	v_fma_f64 v[80:81], v[54:55], s[4:5], v[44:45]
	v_fma_f64 v[82:83], v[56:57], s[0:1], v[46:47]
	;; [unrolled: 1-line block ×8, first 2 shown]
	v_add_f64_e32 v[15:16], v[15:16], v[21:22]
	v_add_f64_e32 v[7:8], v[7:8], v[19:20]
	;; [unrolled: 1-line block ×4, first 2 shown]
	v_fma_f64 v[17:18], v[86:87], s[4:5], v[58:59]
	v_fma_f64 v[58:59], v[86:87], s[0:1], v[58:59]
	;; [unrolled: 1-line block ×11, first 2 shown]
	v_add_f64_e64 v[54:55], v[11:12], -v[23:24]
	v_add_f64_e64 v[11:12], v[23:24], -v[11:12]
	v_add_f64_e32 v[23:24], v[90:91], v[23:24]
	v_add_f64_e64 v[56:57], v[39:40], -v[31:32]
	v_add_f64_e64 v[82:83], v[9:10], -v[21:22]
	v_add_f64_e64 v[9:10], v[21:22], -v[9:10]
	v_add_f64_e64 v[84:85], v[31:32], -v[39:40]
	v_add_f64_e64 v[21:22], v[37:38], -v[29:30]
	v_fma_f64 v[48:49], v[60:61], s[14:15], v[48:49]
	v_fma_f64 v[60:61], v[68:69], s[4:5], v[1:2]
	;; [unrolled: 1-line block ×4, first 2 shown]
	v_add_f64_e64 v[90:91], v[29:30], -v[37:38]
	v_fma_f64 v[1:2], v[68:69], s[0:1], v[1:2]
	v_add_f64_e32 v[7:8], v[7:8], v[27:28]
	v_add_f64_e32 v[15:16], v[15:16], v[29:30]
	;; [unrolled: 1-line block ×3, first 2 shown]
	v_fma_f64 v[17:18], v[88:89], s[12:13], v[17:18]
	v_fma_f64 v[19:20], v[86:87], s[12:13], v[19:20]
	;; [unrolled: 1-line block ×10, first 2 shown]
	v_add_f64_e32 v[23:24], v[23:24], v[31:32]
	v_add_f64_e32 v[52:53], v[54:55], v[56:57]
	;; [unrolled: 1-line block ×4, first 2 shown]
	v_fma_f64 v[48:49], v[66:67], s[18:19], v[48:49]
	v_fma_f64 v[29:30], v[64:65], s[14:15], v[60:61]
	;; [unrolled: 1-line block ×5, first 2 shown]
	v_add_f64_e32 v[9:10], v[9:10], v[90:91]
	v_fma_f64 v[1:2], v[64:65], s[12:13], v[1:2]
	v_add_f64_e32 v[7:8], v[7:8], v[35:36]
	v_add_f64_e32 v[15:16], v[15:16], v[37:38]
	v_add_f64_e32 v[5:6], v[5:6], v[33:34]
	v_mul_f64_e32 v[54:55], s[26:27], v[76:77]
	v_mul_f64_e32 v[56:57], s[28:29], v[78:79]
	;; [unrolled: 1-line block ×3, first 2 shown]
	s_wait_alu 0xfffe
	v_mul_f64_e32 v[50:51], s[30:31], v[44:45]
	v_mul_f64_e32 v[44:45], s[12:13], v[44:45]
	v_mul_f64_e32 v[62:63], s[4:5], v[46:47]
	v_mul_f64_e32 v[64:65], s[4:5], v[78:79]
	v_mul_f64_e32 v[66:67], s[12:13], v[76:77]
	v_add_f64_e32 v[23:24], v[23:24], v[39:40]
	v_fma_f64 v[17:18], v[52:53], s[18:19], v[17:18]
	v_fma_f64 v[37:38], v[52:53], s[18:19], v[25:26]
	;; [unrolled: 1-line block ×16, first 2 shown]
	v_add_f64_e64 v[3:4], v[23:24], -v[7:8]
	v_add_f64_e64 v[1:2], v[15:16], -v[5:6]
	v_add_f64_e32 v[7:8], v[23:24], v[7:8]
	v_add_f64_e32 v[5:6], v[15:16], v[5:6]
	v_add_f64_e64 v[11:12], v[17:18], -v[25:26]
	v_add_f64_e64 v[15:16], v[33:34], -v[27:28]
	;; [unrolled: 1-line block ×3, first 2 shown]
	v_add_f64_e32 v[27:28], v[33:34], v[27:28]
	v_add_f64_e32 v[31:32], v[35:36], v[39:40]
	;; [unrolled: 1-line block ×8, first 2 shown]
	v_add_f64_e64 v[39:40], v[37:38], -v[50:51]
	v_add_f64_e64 v[37:38], v[54:55], -v[13:14]
	;; [unrolled: 1-line block ×5, first 2 shown]
	v_mul_u32_u24_e32 v44, 0xa0, v42
	s_delay_alu instid0(VALU_DEP_1) | instskip(NEXT) | instid1(VALU_DEP_1)
	v_lshlrev_b32_e32 v44, 4, v44
	v_add3_u32 v44, 0, v44, v41
	ds_store_b128 v44, v[5:8]
	ds_store_b128 v44, v[33:36] offset:256
	ds_store_b128 v44, v[29:32] offset:512
	;; [unrolled: 1-line block ×9, first 2 shown]
.LBB0_34:
	s_or_b32 exec_lo, exec_lo, s11
	s_or_b32 s0, s9, vcc_lo
	global_wb scope:SCOPE_SE
	s_wait_loadcnt_dscnt 0x0
	s_barrier_signal -1
	s_barrier_wait -1
	global_inv scope:SCOPE_SE
	s_wait_alu 0xfffe
	s_and_saveexec_b32 s1, s0
	s_cbranch_execz .LBB0_36
; %bb.35:
	v_mul_lo_u16 v1, v42, 26
	v_lshlrev_b32_e32 v29, 8, v42
	s_mov_b32 s0, 0x667f3bcd
	s_mov_b32 s1, 0x3fe6a09e
	;; [unrolled: 1-line block ×3, first 2 shown]
	v_lshrrev_b16 v1, 8, v1
	v_add3_u32 v73, 0, v29, v41
	s_wait_alu 0xfffe
	s_mov_b32 s4, s0
	v_mul_u32_u24_e32 v0, 0x19a, v0
	s_add_nc_u64 s[2:3], s[2:3], s[16:17]
	v_mul_lo_u16 v1, v1, 10
	s_delay_alu instid0(VALU_DEP_2) | instskip(NEXT) | instid1(VALU_DEP_2)
	v_lshrrev_b32_e32 v0, 16, v0
	v_sub_nc_u16 v1, v42, v1
	s_delay_alu instid0(VALU_DEP_2) | instskip(NEXT) | instid1(VALU_DEP_2)
	v_mul_lo_u16 v0, 0x50, v0
	v_and_b32_e32 v72, 0xff, v1
	s_delay_alu instid0(VALU_DEP_2) | instskip(NEXT) | instid1(VALU_DEP_2)
	v_and_b32_e32 v0, 0xffff, v0
	v_mul_u32_u24_e32 v1, 7, v72
	s_delay_alu instid0(VALU_DEP_1)
	v_lshlrev_b32_e32 v25, 4, v1
	s_clause 0x6
	global_load_b128 v[1:4], v25, s[24:25] offset:48
	global_load_b128 v[5:8], v25, s[24:25] offset:16
	;; [unrolled: 1-line block ×3, first 2 shown]
	global_load_b128 v[13:16], v25, s[24:25]
	global_load_b128 v[17:20], v25, s[24:25] offset:64
	global_load_b128 v[21:24], v25, s[24:25] offset:32
	;; [unrolled: 1-line block ×3, first 2 shown]
	ds_load_b128 v[29:32], v73 offset:10240
	ds_load_b128 v[33:36], v73 offset:5120
	;; [unrolled: 1-line block ×7, first 2 shown]
	s_load_b64 s[2:3], s[2:3], 0x0
	s_wait_loadcnt_dscnt 0x606
	v_mul_f64_e32 v[41:42], v[29:30], v[3:4]
	s_wait_loadcnt_dscnt 0x505
	v_mul_f64_e32 v[60:61], v[35:36], v[7:8]
	;; [unrolled: 2-line block ×7, first 2 shown]
	v_mul_f64_e32 v[15:16], v[46:47], v[15:16]
	v_mul_f64_e32 v[19:20], v[50:51], v[19:20]
	;; [unrolled: 1-line block ×7, first 2 shown]
	v_fma_f64 v[31:32], v[31:32], v[1:2], -v[41:42]
	v_fma_f64 v[33:34], v[33:34], v[5:6], v[60:61]
	v_fma_f64 v[37:38], v[37:38], v[9:10], v[62:63]
	v_fma_f64 v[41:42], v[46:47], v[13:14], -v[64:65]
	v_fma_f64 v[46:47], v[50:51], v[17:18], -v[66:67]
	v_fma_f64 v[50:51], v[52:53], v[21:22], v[68:69]
	v_fma_f64 v[52:53], v[56:57], v[25:26], v[70:71]
	;; [unrolled: 1-line block ×4, first 2 shown]
	v_fma_f64 v[17:18], v[54:55], v[21:22], -v[23:24]
	v_fma_f64 v[19:20], v[58:59], v[25:26], -v[27:28]
	v_fma_f64 v[21:22], v[29:30], v[1:2], v[3:4]
	v_fma_f64 v[5:6], v[35:36], v[5:6], -v[7:8]
	v_fma_f64 v[7:8], v[39:40], v[9:10], -v[11:12]
	ds_load_b128 v[1:4], v73
	v_or_b32_e32 v48, v0, v72
	s_wait_dscnt 0x0
	v_add_f64_e64 v[9:10], v[3:4], -v[31:32]
	v_add_f64_e64 v[11:12], v[33:34], -v[37:38]
	;; [unrolled: 1-line block ×4, first 2 shown]
	v_mul_lo_u32 v52, s10, v43
	v_add_f64_e64 v[15:16], v[13:14], -v[15:16]
	v_add_f64_e64 v[19:20], v[17:18], -v[19:20]
	;; [unrolled: 1-line block ×4, first 2 shown]
	v_fma_f64 v[3:4], v[3:4], 2.0, -v[9:10]
	v_add_f64_e64 v[27:28], v[9:10], -v[11:12]
	v_fma_f64 v[11:12], v[33:34], 2.0, -v[11:12]
	v_add_f64_e64 v[29:30], v[23:24], -v[25:26]
	v_add_f64_e32 v[31:32], v[15:16], v[19:20]
	v_fma_f64 v[1:2], v[1:2], 2.0, -v[21:22]
	v_fma_f64 v[17:18], v[17:18], 2.0, -v[19:20]
	v_add_f64_e32 v[35:36], v[21:22], v[7:8]
	v_fma_f64 v[5:6], v[5:6], 2.0, -v[7:8]
	v_fma_f64 v[7:8], v[13:14], 2.0, -v[15:16]
	;; [unrolled: 1-line block ×7, first 2 shown]
	v_add_f64_e64 v[37:38], v[1:2], -v[11:12]
	v_fma_f64 v[11:12], v[29:30], s[0:1], v[27:28]
	v_fma_f64 v[33:34], v[21:22], 2.0, -v[35:36]
	v_add_f64_e64 v[21:22], v[3:4], -v[5:6]
	v_add_f64_e64 v[15:16], v[13:14], -v[17:18]
	;; [unrolled: 1-line block ×3, first 2 shown]
	v_fma_f64 v[17:18], v[31:32], s[0:1], v[35:36]
	v_fma_f64 v[19:20], v[23:24], s[4:5], v[25:26]
	v_fma_f64 v[44:45], v[1:2], 2.0, -v[37:38]
	v_fma_f64 v[39:40], v[9:10], s[4:5], v[33:34]
	v_fma_f64 v[41:42], v[3:4], 2.0, -v[21:22]
	;; [unrolled: 2-line block ×3, first 2 shown]
	v_fma_f64 v[46:47], v[7:8], 2.0, -v[5:6]
	v_add_f64_e64 v[6:7], v[21:22], -v[5:6]
	v_add_f64_e32 v[4:5], v[37:38], v[15:16]
	v_fma_f64 v[0:1], v[29:30], s[0:1], v[17:18]
	v_mul_lo_u32 v16, s8, v48
	v_add_nc_u32_e32 v17, 10, v48
	v_add_nc_u32_e32 v18, 20, v48
	;; [unrolled: 1-line block ×4, first 2 shown]
	s_delay_alu instid0(VALU_DEP_3) | instskip(NEXT) | instid1(VALU_DEP_3)
	v_mul_lo_u32 v18, s8, v18
	v_mul_lo_u32 v54, s8, v29
	s_delay_alu instid0(VALU_DEP_3) | instskip(SKIP_3) | instid1(VALU_DEP_2)
	v_mul_lo_u32 v55, s8, v30
	v_fma_f64 v[10:11], v[9:10], s[4:5], v[19:20]
	v_add_nc_u32_e32 v19, 30, v48
	v_add_nc_u32_e32 v20, 40, v48
	v_mul_lo_u32 v19, s8, v19
	v_fma_f64 v[8:9], v[23:24], s[0:1], v[39:40]
	v_mov_b32_e32 v40, 0
	s_wait_kmcnt 0x0
	s_mul_i32 s0, s2, s22
	v_add_f64_e64 v[14:15], v[41:42], -v[13:14]
	v_add_f64_e64 v[12:13], v[44:45], -v[46:47]
	v_mul_lo_u32 v23, s8, v17
	s_wait_alu 0xfffe
	s_add_co_i32 s0, s0, s20
	v_add_nc_u32_e32 v24, 50, v48
	s_wait_alu 0xfffe
	v_add3_u32 v39, v52, v16, s0
	v_mul_lo_u32 v43, s8, v20
	s_delay_alu instid0(VALU_DEP_3) | instskip(NEXT) | instid1(VALU_DEP_3)
	v_mul_lo_u32 v53, s8, v24
	v_lshlrev_b64_e32 v[16:17], 4, v[39:40]
	v_add3_u32 v39, v52, v23, s0
	v_fma_f64 v[22:23], v[21:22], 2.0, -v[6:7]
	v_fma_f64 v[20:21], v[37:38], 2.0, -v[4:5]
	s_delay_alu instid0(VALU_DEP_3) | instskip(SKIP_4) | instid1(VALU_DEP_3)
	v_lshlrev_b64_e32 v[46:47], 4, v[39:40]
	v_add3_u32 v39, v52, v18, s0
	v_add_co_u32 v48, vcc_lo, s6, v16
	s_wait_alu 0xfffd
	v_add_co_ci_u32_e32 v49, vcc_lo, s7, v17, vcc_lo
	v_lshlrev_b64_e32 v[50:51], 4, v[39:40]
	v_add3_u32 v39, v52, v19, s0
	v_fma_f64 v[18:19], v[27:28], 2.0, -v[2:3]
	v_fma_f64 v[16:17], v[35:36], 2.0, -v[0:1]
	v_add_co_u32 v32, vcc_lo, s6, v46
	v_fma_f64 v[26:27], v[25:26], 2.0, -v[10:11]
	v_fma_f64 v[24:25], v[33:34], 2.0, -v[8:9]
	v_lshlrev_b64_e32 v[34:35], 4, v[39:40]
	v_add3_u32 v39, v52, v43, s0
	v_fma_f64 v[30:31], v[41:42], 2.0, -v[14:15]
	v_fma_f64 v[28:29], v[44:45], 2.0, -v[12:13]
	s_wait_alu 0xfffd
	v_add_co_ci_u32_e32 v33, vcc_lo, s7, v47, vcc_lo
	v_lshlrev_b64_e32 v[41:42], 4, v[39:40]
	v_add3_u32 v39, v52, v53, s0
	v_add_co_u32 v36, vcc_lo, s6, v50
	s_wait_alu 0xfffd
	v_add_co_ci_u32_e32 v37, vcc_lo, s7, v51, vcc_lo
	s_delay_alu instid0(VALU_DEP_3) | instskip(SKIP_4) | instid1(VALU_DEP_3)
	v_lshlrev_b64_e32 v[43:44], 4, v[39:40]
	v_add3_u32 v39, v52, v54, s0
	v_add_co_u32 v34, vcc_lo, s6, v34
	s_wait_alu 0xfffd
	v_add_co_ci_u32_e32 v35, vcc_lo, s7, v35, vcc_lo
	v_lshlrev_b64_e32 v[45:46], 4, v[39:40]
	v_add3_u32 v39, v52, v55, s0
	v_add_co_u32 v41, vcc_lo, s6, v41
	s_wait_alu 0xfffd
	v_add_co_ci_u32_e32 v42, vcc_lo, s7, v42, vcc_lo
	v_add_co_u32 v43, vcc_lo, s6, v43
	v_lshlrev_b64_e32 v[38:39], 4, v[39:40]
	s_wait_alu 0xfffd
	v_add_co_ci_u32_e32 v44, vcc_lo, s7, v44, vcc_lo
	v_add_co_u32 v45, vcc_lo, s6, v45
	s_wait_alu 0xfffd
	v_add_co_ci_u32_e32 v46, vcc_lo, s7, v46, vcc_lo
	v_add_co_u32 v38, vcc_lo, s6, v38
	s_wait_alu 0xfffd
	v_add_co_ci_u32_e32 v39, vcc_lo, s7, v39, vcc_lo
	s_clause 0x7
	global_store_b128 v[48:49], v[28:31], off
	global_store_b128 v[32:33], v[24:27], off
	;; [unrolled: 1-line block ×8, first 2 shown]
.LBB0_36:
	s_nop 0
	s_sendmsg sendmsg(MSG_DEALLOC_VGPRS)
	s_endpgm
	.section	.rodata,"a",@progbits
	.p2align	6, 0x0
	.amdhsa_kernel fft_rtc_back_len80_factors_10_8_wgs_160_tpt_10_dp_op_CI_CI_sbcc_dirReg_intrinsicReadWrite
		.amdhsa_group_segment_fixed_size 0
		.amdhsa_private_segment_fixed_size 0
		.amdhsa_kernarg_size 112
		.amdhsa_user_sgpr_count 2
		.amdhsa_user_sgpr_dispatch_ptr 0
		.amdhsa_user_sgpr_queue_ptr 0
		.amdhsa_user_sgpr_kernarg_segment_ptr 1
		.amdhsa_user_sgpr_dispatch_id 0
		.amdhsa_user_sgpr_private_segment_size 0
		.amdhsa_wavefront_size32 1
		.amdhsa_uses_dynamic_stack 0
		.amdhsa_enable_private_segment 0
		.amdhsa_system_sgpr_workgroup_id_x 1
		.amdhsa_system_sgpr_workgroup_id_y 0
		.amdhsa_system_sgpr_workgroup_id_z 0
		.amdhsa_system_sgpr_workgroup_info 0
		.amdhsa_system_vgpr_workitem_id 0
		.amdhsa_next_free_vgpr 94
		.amdhsa_next_free_sgpr 60
		.amdhsa_reserve_vcc 1
		.amdhsa_float_round_mode_32 0
		.amdhsa_float_round_mode_16_64 0
		.amdhsa_float_denorm_mode_32 3
		.amdhsa_float_denorm_mode_16_64 3
		.amdhsa_fp16_overflow 0
		.amdhsa_workgroup_processor_mode 1
		.amdhsa_memory_ordered 1
		.amdhsa_forward_progress 0
		.amdhsa_round_robin_scheduling 0
		.amdhsa_exception_fp_ieee_invalid_op 0
		.amdhsa_exception_fp_denorm_src 0
		.amdhsa_exception_fp_ieee_div_zero 0
		.amdhsa_exception_fp_ieee_overflow 0
		.amdhsa_exception_fp_ieee_underflow 0
		.amdhsa_exception_fp_ieee_inexact 0
		.amdhsa_exception_int_div_zero 0
	.end_amdhsa_kernel
	.text
.Lfunc_end0:
	.size	fft_rtc_back_len80_factors_10_8_wgs_160_tpt_10_dp_op_CI_CI_sbcc_dirReg_intrinsicReadWrite, .Lfunc_end0-fft_rtc_back_len80_factors_10_8_wgs_160_tpt_10_dp_op_CI_CI_sbcc_dirReg_intrinsicReadWrite
                                        ; -- End function
	.section	.AMDGPU.csdata,"",@progbits
; Kernel info:
; codeLenInByte = 5168
; NumSgprs: 62
; NumVgprs: 94
; ScratchSize: 0
; MemoryBound: 0
; FloatMode: 240
; IeeeMode: 1
; LDSByteSize: 0 bytes/workgroup (compile time only)
; SGPRBlocks: 7
; VGPRBlocks: 11
; NumSGPRsForWavesPerEU: 62
; NumVGPRsForWavesPerEU: 94
; Occupancy: 15
; WaveLimiterHint : 1
; COMPUTE_PGM_RSRC2:SCRATCH_EN: 0
; COMPUTE_PGM_RSRC2:USER_SGPR: 2
; COMPUTE_PGM_RSRC2:TRAP_HANDLER: 0
; COMPUTE_PGM_RSRC2:TGID_X_EN: 1
; COMPUTE_PGM_RSRC2:TGID_Y_EN: 0
; COMPUTE_PGM_RSRC2:TGID_Z_EN: 0
; COMPUTE_PGM_RSRC2:TIDIG_COMP_CNT: 0
	.text
	.p2alignl 7, 3214868480
	.fill 96, 4, 3214868480
	.type	__hip_cuid_53dee0a84020d49f,@object ; @__hip_cuid_53dee0a84020d49f
	.section	.bss,"aw",@nobits
	.globl	__hip_cuid_53dee0a84020d49f
__hip_cuid_53dee0a84020d49f:
	.byte	0                               ; 0x0
	.size	__hip_cuid_53dee0a84020d49f, 1

	.ident	"AMD clang version 19.0.0git (https://github.com/RadeonOpenCompute/llvm-project roc-6.4.0 25133 c7fe45cf4b819c5991fe208aaa96edf142730f1d)"
	.section	".note.GNU-stack","",@progbits
	.addrsig
	.addrsig_sym __hip_cuid_53dee0a84020d49f
	.amdgpu_metadata
---
amdhsa.kernels:
  - .args:
      - .actual_access:  read_only
        .address_space:  global
        .offset:         0
        .size:           8
        .value_kind:     global_buffer
      - .address_space:  global
        .offset:         8
        .size:           8
        .value_kind:     global_buffer
      - .offset:         16
        .size:           8
        .value_kind:     by_value
      - .actual_access:  read_only
        .address_space:  global
        .offset:         24
        .size:           8
        .value_kind:     global_buffer
      - .actual_access:  read_only
        .address_space:  global
        .offset:         32
        .size:           8
        .value_kind:     global_buffer
      - .actual_access:  read_only
        .address_space:  global
        .offset:         40
        .size:           8
        .value_kind:     global_buffer
      - .offset:         48
        .size:           8
        .value_kind:     by_value
      - .actual_access:  read_only
        .address_space:  global
        .offset:         56
        .size:           8
        .value_kind:     global_buffer
      - .actual_access:  read_only
        .address_space:  global
        .offset:         64
        .size:           8
        .value_kind:     global_buffer
      - .offset:         72
        .size:           4
        .value_kind:     by_value
      - .actual_access:  read_only
        .address_space:  global
        .offset:         80
        .size:           8
        .value_kind:     global_buffer
      - .actual_access:  read_only
        .address_space:  global
        .offset:         88
        .size:           8
        .value_kind:     global_buffer
      - .actual_access:  read_only
        .address_space:  global
        .offset:         96
        .size:           8
        .value_kind:     global_buffer
      - .actual_access:  write_only
        .address_space:  global
        .offset:         104
        .size:           8
        .value_kind:     global_buffer
    .group_segment_fixed_size: 0
    .kernarg_segment_align: 8
    .kernarg_segment_size: 112
    .language:       OpenCL C
    .language_version:
      - 2
      - 0
    .max_flat_workgroup_size: 160
    .name:           fft_rtc_back_len80_factors_10_8_wgs_160_tpt_10_dp_op_CI_CI_sbcc_dirReg_intrinsicReadWrite
    .private_segment_fixed_size: 0
    .sgpr_count:     62
    .sgpr_spill_count: 0
    .symbol:         fft_rtc_back_len80_factors_10_8_wgs_160_tpt_10_dp_op_CI_CI_sbcc_dirReg_intrinsicReadWrite.kd
    .uniform_work_group_size: 1
    .uses_dynamic_stack: false
    .vgpr_count:     94
    .vgpr_spill_count: 0
    .wavefront_size: 32
    .workgroup_processor_mode: 1
amdhsa.target:   amdgcn-amd-amdhsa--gfx1201
amdhsa.version:
  - 1
  - 2
...

	.end_amdgpu_metadata
